;; amdgpu-corpus repo=ROCm/rocFFT kind=compiled arch=gfx1201 opt=O3
	.text
	.amdgcn_target "amdgcn-amd-amdhsa--gfx1201"
	.amdhsa_code_object_version 6
	.protected	fft_rtc_fwd_len384_factors_6_4_4_4_wgs_128_tpt_32_halfLds_half_ip_CI_sbrr_dirReg ; -- Begin function fft_rtc_fwd_len384_factors_6_4_4_4_wgs_128_tpt_32_halfLds_half_ip_CI_sbrr_dirReg
	.globl	fft_rtc_fwd_len384_factors_6_4_4_4_wgs_128_tpt_32_halfLds_half_ip_CI_sbrr_dirReg
	.p2align	8
	.type	fft_rtc_fwd_len384_factors_6_4_4_4_wgs_128_tpt_32_halfLds_half_ip_CI_sbrr_dirReg,@function
fft_rtc_fwd_len384_factors_6_4_4_4_wgs_128_tpt_32_halfLds_half_ip_CI_sbrr_dirReg: ; @fft_rtc_fwd_len384_factors_6_4_4_4_wgs_128_tpt_32_halfLds_half_ip_CI_sbrr_dirReg
; %bb.0:
	s_clause 0x2
	s_load_b64 s[12:13], s[0:1], 0x18
	s_load_b128 s[4:7], s[0:1], 0x0
	s_load_b64 s[10:11], s[0:1], 0x50
	v_lshrrev_b32_e32 v18, 5, v0
	v_mov_b32_e32 v3, 0
	v_mov_b32_e32 v1, 0
	;; [unrolled: 1-line block ×3, first 2 shown]
	s_delay_alu instid0(VALU_DEP_4) | instskip(NEXT) | instid1(VALU_DEP_4)
	v_lshl_or_b32 v5, ttmp9, 2, v18
	v_mov_b32_e32 v6, v3
	s_wait_kmcnt 0x0
	s_load_b64 s[8:9], s[12:13], 0x0
	v_cmp_lt_u64_e64 s2, s[6:7], 2
	s_delay_alu instid0(VALU_DEP_1)
	s_and_b32 vcc_lo, exec_lo, s2
	s_cbranch_vccnz .LBB0_8
; %bb.1:
	s_load_b64 s[2:3], s[0:1], 0x10
	v_mov_b32_e32 v1, 0
	v_mov_b32_e32 v2, 0
	s_add_nc_u64 s[14:15], s[12:13], 8
	s_mov_b64 s[16:17], 1
	s_wait_kmcnt 0x0
	s_add_nc_u64 s[18:19], s[2:3], 8
	s_mov_b32 s3, 0
.LBB0_2:                                ; =>This Inner Loop Header: Depth=1
	s_load_b64 s[20:21], s[18:19], 0x0
                                        ; implicit-def: $vgpr7_vgpr8
	s_mov_b32 s2, exec_lo
	s_wait_kmcnt 0x0
	v_or_b32_e32 v4, s21, v6
	s_delay_alu instid0(VALU_DEP_1)
	v_cmpx_ne_u64_e32 0, v[3:4]
	s_wait_alu 0xfffe
	s_xor_b32 s22, exec_lo, s2
	s_cbranch_execz .LBB0_4
; %bb.3:                                ;   in Loop: Header=BB0_2 Depth=1
	s_cvt_f32_u32 s2, s20
	s_cvt_f32_u32 s23, s21
	s_sub_nc_u64 s[26:27], 0, s[20:21]
	s_wait_alu 0xfffe
	s_delay_alu instid0(SALU_CYCLE_1) | instskip(SKIP_1) | instid1(SALU_CYCLE_2)
	s_fmamk_f32 s2, s23, 0x4f800000, s2
	s_wait_alu 0xfffe
	v_s_rcp_f32 s2, s2
	s_delay_alu instid0(TRANS32_DEP_1) | instskip(SKIP_1) | instid1(SALU_CYCLE_2)
	s_mul_f32 s2, s2, 0x5f7ffffc
	s_wait_alu 0xfffe
	s_mul_f32 s23, s2, 0x2f800000
	s_wait_alu 0xfffe
	s_delay_alu instid0(SALU_CYCLE_2) | instskip(SKIP_1) | instid1(SALU_CYCLE_2)
	s_trunc_f32 s23, s23
	s_wait_alu 0xfffe
	s_fmamk_f32 s2, s23, 0xcf800000, s2
	s_cvt_u32_f32 s25, s23
	s_wait_alu 0xfffe
	s_delay_alu instid0(SALU_CYCLE_1) | instskip(SKIP_1) | instid1(SALU_CYCLE_2)
	s_cvt_u32_f32 s24, s2
	s_wait_alu 0xfffe
	s_mul_u64 s[28:29], s[26:27], s[24:25]
	s_wait_alu 0xfffe
	s_mul_hi_u32 s31, s24, s29
	s_mul_i32 s30, s24, s29
	s_mul_hi_u32 s2, s24, s28
	s_mul_i32 s33, s25, s28
	s_wait_alu 0xfffe
	s_add_nc_u64 s[30:31], s[2:3], s[30:31]
	s_mul_hi_u32 s23, s25, s28
	s_mul_hi_u32 s34, s25, s29
	s_add_co_u32 s2, s30, s33
	s_wait_alu 0xfffe
	s_add_co_ci_u32 s2, s31, s23
	s_mul_i32 s28, s25, s29
	s_add_co_ci_u32 s29, s34, 0
	s_wait_alu 0xfffe
	s_add_nc_u64 s[28:29], s[2:3], s[28:29]
	s_wait_alu 0xfffe
	v_add_co_u32 v4, s2, s24, s28
	s_delay_alu instid0(VALU_DEP_1) | instskip(SKIP_1) | instid1(VALU_DEP_1)
	s_cmp_lg_u32 s2, 0
	s_add_co_ci_u32 s25, s25, s29
	v_readfirstlane_b32 s24, v4
	s_wait_alu 0xfffe
	s_delay_alu instid0(VALU_DEP_1)
	s_mul_u64 s[26:27], s[26:27], s[24:25]
	s_wait_alu 0xfffe
	s_mul_hi_u32 s29, s24, s27
	s_mul_i32 s28, s24, s27
	s_mul_hi_u32 s2, s24, s26
	s_mul_i32 s30, s25, s26
	s_wait_alu 0xfffe
	s_add_nc_u64 s[28:29], s[2:3], s[28:29]
	s_mul_hi_u32 s23, s25, s26
	s_mul_hi_u32 s24, s25, s27
	s_wait_alu 0xfffe
	s_add_co_u32 s2, s28, s30
	s_add_co_ci_u32 s2, s29, s23
	s_mul_i32 s26, s25, s27
	s_add_co_ci_u32 s27, s24, 0
	s_wait_alu 0xfffe
	s_add_nc_u64 s[26:27], s[2:3], s[26:27]
	s_wait_alu 0xfffe
	v_add_co_u32 v4, s2, v4, s26
	s_delay_alu instid0(VALU_DEP_1) | instskip(SKIP_1) | instid1(VALU_DEP_1)
	s_cmp_lg_u32 s2, 0
	s_add_co_ci_u32 s2, s25, s27
	v_mul_hi_u32 v13, v5, v4
	s_wait_alu 0xfffe
	v_mad_co_u64_u32 v[7:8], null, v5, s2, 0
	v_mad_co_u64_u32 v[9:10], null, v6, v4, 0
	;; [unrolled: 1-line block ×3, first 2 shown]
	s_delay_alu instid0(VALU_DEP_3) | instskip(SKIP_1) | instid1(VALU_DEP_4)
	v_add_co_u32 v4, vcc_lo, v13, v7
	s_wait_alu 0xfffd
	v_add_co_ci_u32_e32 v7, vcc_lo, 0, v8, vcc_lo
	s_delay_alu instid0(VALU_DEP_2) | instskip(SKIP_1) | instid1(VALU_DEP_2)
	v_add_co_u32 v4, vcc_lo, v4, v9
	s_wait_alu 0xfffd
	v_add_co_ci_u32_e32 v4, vcc_lo, v7, v10, vcc_lo
	s_wait_alu 0xfffd
	v_add_co_ci_u32_e32 v7, vcc_lo, 0, v12, vcc_lo
	s_delay_alu instid0(VALU_DEP_2) | instskip(SKIP_1) | instid1(VALU_DEP_2)
	v_add_co_u32 v4, vcc_lo, v4, v11
	s_wait_alu 0xfffd
	v_add_co_ci_u32_e32 v9, vcc_lo, 0, v7, vcc_lo
	s_delay_alu instid0(VALU_DEP_2) | instskip(SKIP_1) | instid1(VALU_DEP_3)
	v_mul_lo_u32 v10, s21, v4
	v_mad_co_u64_u32 v[7:8], null, s20, v4, 0
	v_mul_lo_u32 v11, s20, v9
	s_delay_alu instid0(VALU_DEP_2) | instskip(NEXT) | instid1(VALU_DEP_2)
	v_sub_co_u32 v7, vcc_lo, v5, v7
	v_add3_u32 v8, v8, v11, v10
	s_delay_alu instid0(VALU_DEP_1) | instskip(SKIP_1) | instid1(VALU_DEP_1)
	v_sub_nc_u32_e32 v10, v6, v8
	s_wait_alu 0xfffd
	v_subrev_co_ci_u32_e64 v10, s2, s21, v10, vcc_lo
	v_add_co_u32 v11, s2, v4, 2
	s_wait_alu 0xf1ff
	v_add_co_ci_u32_e64 v12, s2, 0, v9, s2
	v_sub_co_u32 v13, s2, v7, s20
	v_sub_co_ci_u32_e32 v8, vcc_lo, v6, v8, vcc_lo
	s_wait_alu 0xf1ff
	v_subrev_co_ci_u32_e64 v10, s2, 0, v10, s2
	s_delay_alu instid0(VALU_DEP_3) | instskip(NEXT) | instid1(VALU_DEP_3)
	v_cmp_le_u32_e32 vcc_lo, s20, v13
	v_cmp_eq_u32_e64 s2, s21, v8
	s_wait_alu 0xfffd
	v_cndmask_b32_e64 v13, 0, -1, vcc_lo
	v_cmp_le_u32_e32 vcc_lo, s21, v10
	s_wait_alu 0xfffd
	v_cndmask_b32_e64 v14, 0, -1, vcc_lo
	v_cmp_le_u32_e32 vcc_lo, s20, v7
	;; [unrolled: 3-line block ×3, first 2 shown]
	s_wait_alu 0xfffd
	v_cndmask_b32_e64 v15, 0, -1, vcc_lo
	v_cmp_eq_u32_e32 vcc_lo, s21, v10
	s_wait_alu 0xf1ff
	s_delay_alu instid0(VALU_DEP_2)
	v_cndmask_b32_e64 v7, v15, v7, s2
	s_wait_alu 0xfffd
	v_cndmask_b32_e32 v10, v14, v13, vcc_lo
	v_add_co_u32 v13, vcc_lo, v4, 1
	s_wait_alu 0xfffd
	v_add_co_ci_u32_e32 v14, vcc_lo, 0, v9, vcc_lo
	s_delay_alu instid0(VALU_DEP_3) | instskip(SKIP_2) | instid1(VALU_DEP_3)
	v_cmp_ne_u32_e32 vcc_lo, 0, v10
	s_wait_alu 0xfffd
	v_cndmask_b32_e32 v10, v13, v11, vcc_lo
	v_cndmask_b32_e32 v8, v14, v12, vcc_lo
	v_cmp_ne_u32_e32 vcc_lo, 0, v7
	s_wait_alu 0xfffd
	s_delay_alu instid0(VALU_DEP_2)
	v_dual_cndmask_b32 v7, v4, v10 :: v_dual_cndmask_b32 v8, v9, v8
.LBB0_4:                                ;   in Loop: Header=BB0_2 Depth=1
	s_wait_alu 0xfffe
	s_and_not1_saveexec_b32 s2, s22
	s_cbranch_execz .LBB0_6
; %bb.5:                                ;   in Loop: Header=BB0_2 Depth=1
	v_cvt_f32_u32_e32 v4, s20
	s_sub_co_i32 s22, 0, s20
	s_delay_alu instid0(VALU_DEP_1) | instskip(NEXT) | instid1(TRANS32_DEP_1)
	v_rcp_iflag_f32_e32 v4, v4
	v_mul_f32_e32 v4, 0x4f7ffffe, v4
	s_delay_alu instid0(VALU_DEP_1) | instskip(SKIP_1) | instid1(VALU_DEP_1)
	v_cvt_u32_f32_e32 v4, v4
	s_wait_alu 0xfffe
	v_mul_lo_u32 v7, s22, v4
	s_delay_alu instid0(VALU_DEP_1) | instskip(NEXT) | instid1(VALU_DEP_1)
	v_mul_hi_u32 v7, v4, v7
	v_add_nc_u32_e32 v4, v4, v7
	s_delay_alu instid0(VALU_DEP_1) | instskip(NEXT) | instid1(VALU_DEP_1)
	v_mul_hi_u32 v4, v5, v4
	v_mul_lo_u32 v7, v4, s20
	v_add_nc_u32_e32 v8, 1, v4
	s_delay_alu instid0(VALU_DEP_2) | instskip(NEXT) | instid1(VALU_DEP_1)
	v_sub_nc_u32_e32 v7, v5, v7
	v_subrev_nc_u32_e32 v9, s20, v7
	v_cmp_le_u32_e32 vcc_lo, s20, v7
	s_wait_alu 0xfffd
	s_delay_alu instid0(VALU_DEP_2) | instskip(NEXT) | instid1(VALU_DEP_1)
	v_dual_cndmask_b32 v7, v7, v9 :: v_dual_cndmask_b32 v4, v4, v8
	v_cmp_le_u32_e32 vcc_lo, s20, v7
	s_delay_alu instid0(VALU_DEP_2) | instskip(SKIP_1) | instid1(VALU_DEP_1)
	v_add_nc_u32_e32 v8, 1, v4
	s_wait_alu 0xfffd
	v_dual_cndmask_b32 v7, v4, v8 :: v_dual_mov_b32 v8, v3
.LBB0_6:                                ;   in Loop: Header=BB0_2 Depth=1
	s_wait_alu 0xfffe
	s_or_b32 exec_lo, exec_lo, s2
	s_load_b64 s[22:23], s[14:15], 0x0
	s_delay_alu instid0(VALU_DEP_1)
	v_mul_lo_u32 v4, v8, s20
	v_mul_lo_u32 v11, v7, s21
	v_mad_co_u64_u32 v[9:10], null, v7, s20, 0
	s_add_nc_u64 s[16:17], s[16:17], 1
	s_add_nc_u64 s[14:15], s[14:15], 8
	s_wait_alu 0xfffe
	v_cmp_ge_u64_e64 s2, s[16:17], s[6:7]
	s_add_nc_u64 s[18:19], s[18:19], 8
	s_delay_alu instid0(VALU_DEP_2) | instskip(NEXT) | instid1(VALU_DEP_3)
	v_add3_u32 v4, v10, v11, v4
	v_sub_co_u32 v5, vcc_lo, v5, v9
	s_wait_alu 0xfffd
	s_delay_alu instid0(VALU_DEP_2) | instskip(SKIP_3) | instid1(VALU_DEP_2)
	v_sub_co_ci_u32_e32 v4, vcc_lo, v6, v4, vcc_lo
	s_and_b32 vcc_lo, exec_lo, s2
	s_wait_kmcnt 0x0
	v_mul_lo_u32 v6, s23, v5
	v_mul_lo_u32 v4, s22, v4
	v_mad_co_u64_u32 v[1:2], null, s22, v5, v[1:2]
	s_delay_alu instid0(VALU_DEP_1)
	v_add3_u32 v2, v6, v2, v4
	s_wait_alu 0xfffe
	s_cbranch_vccnz .LBB0_9
; %bb.7:                                ;   in Loop: Header=BB0_2 Depth=1
	v_dual_mov_b32 v5, v7 :: v_dual_mov_b32 v6, v8
	s_branch .LBB0_2
.LBB0_8:
	v_dual_mov_b32 v8, v6 :: v_dual_mov_b32 v7, v5
.LBB0_9:
	s_lshl_b64 s[2:3], s[6:7], 3
	v_and_b32_e32 v6, 31, v0
	s_wait_alu 0xfffe
	s_add_nc_u64 s[2:3], s[12:13], s[2:3]
                                        ; implicit-def: $vgpr17
                                        ; implicit-def: $vgpr16
	s_load_b64 s[2:3], s[2:3], 0x0
	s_load_b64 s[0:1], s[0:1], 0x20
	v_or_b32_e32 v4, 32, v6
	s_wait_kmcnt 0x0
	v_mul_lo_u32 v3, s2, v8
	v_mul_lo_u32 v5, s3, v7
	v_mad_co_u64_u32 v[1:2], null, s2, v7, v[1:2]
	v_cmp_gt_u64_e32 vcc_lo, s[0:1], v[7:8]
	v_cmp_le_u64_e64 s0, s[0:1], v[7:8]
	s_delay_alu instid0(VALU_DEP_3) | instskip(SKIP_1) | instid1(VALU_DEP_3)
	v_add3_u32 v2, v5, v2, v3
	v_or_b32_e32 v5, 64, v6
	s_and_saveexec_b32 s1, s0
	s_wait_alu 0xfffe
	s_xor_b32 s0, exec_lo, s1
; %bb.10:
	v_or_b32_e32 v17, 32, v6
	v_or_b32_e32 v16, 64, v6
; %bb.11:
	s_wait_alu 0xfffe
	s_or_saveexec_b32 s1, s0
	v_lshlrev_b64_e32 v[0:1], 2, v[1:2]
	v_or_b32_e32 v8, 0x80, v6
	v_or_b32_e32 v12, 0xc0, v6
	;; [unrolled: 1-line block ×9, first 2 shown]
                                        ; implicit-def: $vgpr28
                                        ; implicit-def: $vgpr26
                                        ; implicit-def: $vgpr32
                                        ; implicit-def: $vgpr29
                                        ; implicit-def: $vgpr40
                                        ; implicit-def: $vgpr37
                                        ; implicit-def: $vgpr36
                                        ; implicit-def: $vgpr33
                                        ; implicit-def: $vgpr39
                                        ; implicit-def: $vgpr38
                                        ; implicit-def: $vgpr35
                                        ; implicit-def: $vgpr34
                                        ; implicit-def: $vgpr2
                                        ; implicit-def: $vgpr3
                                        ; implicit-def: $vgpr20
                                        ; implicit-def: $vgpr19
                                        ; implicit-def: $vgpr31
                                        ; implicit-def: $vgpr25
                                        ; implicit-def: $vgpr24
                                        ; implicit-def: $vgpr21
                                        ; implicit-def: $vgpr30
                                        ; implicit-def: $vgpr27
                                        ; implicit-def: $vgpr23
                                        ; implicit-def: $vgpr22
	s_wait_alu 0xfffe
	s_xor_b32 exec_lo, exec_lo, s1
	s_cbranch_execz .LBB0_13
; %bb.12:
	v_mad_co_u64_u32 v[2:3], null, s8, v6, 0
	v_mad_co_u64_u32 v[16:17], null, s8, v5, 0
	;; [unrolled: 1-line block ×3, first 2 shown]
	v_add_co_u32 v38, s0, s10, v0
	s_delay_alu instid0(VALU_DEP_4) | instskip(SKIP_3) | instid1(VALU_DEP_4)
	v_mad_co_u64_u32 v[21:22], null, s9, v6, v[3:4]
	v_mad_co_u64_u32 v[22:23], null, s8, v12, 0
	;; [unrolled: 1-line block ×4, first 2 shown]
	v_mov_b32_e32 v3, v21
	s_wait_alu 0xf1ff
	v_add_co_ci_u32_e64 v48, s0, s11, v1, s0
	v_mov_b32_e32 v21, v23
	v_mov_b32_e32 v17, v24
	v_mad_co_u64_u32 v[32:33], null, s8, v14, 0
	v_mad_co_u64_u32 v[36:37], null, s8, v15, 0
	s_delay_alu instid0(VALU_DEP_4) | instskip(SKIP_1) | instid1(VALU_DEP_2)
	v_mad_co_u64_u32 v[23:24], null, s9, v8, v[20:21]
	v_mad_co_u64_u32 v[27:28], null, s9, v12, v[21:22]
	v_dual_mov_b32 v21, v26 :: v_dual_mov_b32 v20, v23
	s_delay_alu instid0(VALU_DEP_1) | instskip(NEXT) | instid1(VALU_DEP_3)
	v_mad_co_u64_u32 v[29:30], null, s9, v7, v[21:22]
	v_mov_b32_e32 v23, v27
	v_mad_co_u64_u32 v[27:28], null, s8, v9, 0
	v_lshlrev_b64_e32 v[2:3], 2, v[2:3]
	v_mad_co_u64_u32 v[30:31], null, s8, v4, 0
	s_delay_alu instid0(VALU_DEP_4)
	v_lshlrev_b64_e32 v[21:22], 2, v[22:23]
	v_mov_b32_e32 v26, v29
	v_lshlrev_b64_e32 v[16:17], 2, v[16:17]
	v_mov_b32_e32 v23, v28
	v_add_co_u32 v2, s0, v38, v2
	v_lshlrev_b64_e32 v[19:20], 2, v[19:20]
	s_wait_alu 0xf1ff
	v_add_co_ci_u32_e64 v3, s0, v48, v3, s0
	v_mad_co_u64_u32 v[23:24], null, s9, v9, v[23:24]
	v_add_co_u32 v16, s0, v38, v16
	v_lshlrev_b64_e32 v[25:26], 2, v[25:26]
	v_mov_b32_e32 v24, v31
	s_wait_alu 0xf1ff
	v_add_co_ci_u32_e64 v17, s0, v48, v17, s0
	v_add_co_u32 v19, s0, v38, v19
	s_wait_alu 0xf1ff
	v_add_co_ci_u32_e64 v20, s0, v48, v20, s0
	v_add_co_u32 v21, s0, v38, v21
	v_mad_co_u64_u32 v[34:35], null, s9, v4, v[24:25]
	v_mov_b32_e32 v28, v23
	s_wait_alu 0xf1ff
	v_add_co_ci_u32_e64 v22, s0, v48, v22, s0
	v_add_co_u32 v23, s0, v38, v25
	s_wait_alu 0xf1ff
	v_add_co_ci_u32_e64 v24, s0, v48, v26, s0
	v_lshlrev_b64_e32 v[25:26], 2, v[27:28]
	v_mad_co_u64_u32 v[28:29], null, s8, v10, 0
	v_mov_b32_e32 v27, v33
	v_mov_b32_e32 v31, v34
	s_delay_alu instid0(VALU_DEP_4)
	v_add_co_u32 v39, s0, v38, v25
	s_wait_alu 0xf1ff
	v_add_co_ci_u32_e64 v40, s0, v48, v26, s0
	v_mad_co_u64_u32 v[33:34], null, s9, v14, v[27:28]
	v_lshlrev_b64_e32 v[26:27], 2, v[30:31]
	v_mad_co_u64_u32 v[34:35], null, s8, v13, 0
	v_mov_b32_e32 v25, v29
	s_delay_alu instid0(VALU_DEP_3) | instskip(NEXT) | instid1(VALU_DEP_2)
	v_add_co_u32 v44, s0, v38, v26
	v_mad_co_u64_u32 v[30:31], null, s9, v10, v[25:26]
	s_delay_alu instid0(VALU_DEP_4)
	v_mov_b32_e32 v29, v35
	s_wait_alu 0xf1ff
	v_add_co_ci_u32_e64 v45, s0, v48, v27, s0
	v_lshlrev_b64_e32 v[26:27], 2, v[32:33]
	v_mov_b32_e32 v25, v37
	v_mad_co_u64_u32 v[41:42], null, s9, v13, v[29:30]
	v_mad_co_u64_u32 v[42:43], null, s8, v11, 0
	v_mov_b32_e32 v29, v30
	s_delay_alu instid0(VALU_DEP_4)
	v_mad_co_u64_u32 v[30:31], null, s9, v15, v[25:26]
	v_add_co_u32 v31, s0, v38, v26
	s_wait_alu 0xf1ff
	v_add_co_ci_u32_e64 v32, s0, v48, v27, s0
	v_lshlrev_b64_e32 v[26:27], 2, v[28:29]
	v_mov_b32_e32 v25, v43
	v_mov_b32_e32 v35, v41
	;; [unrolled: 1-line block ×3, first 2 shown]
	s_delay_alu instid0(VALU_DEP_3) | instskip(NEXT) | instid1(VALU_DEP_3)
	v_mad_co_u64_u32 v[28:29], null, s9, v11, v[25:26]
	v_lshlrev_b64_e32 v[33:34], 2, v[34:35]
	v_add_co_u32 v46, s0, v38, v26
	s_delay_alu instid0(VALU_DEP_4)
	v_lshlrev_b64_e32 v[25:26], 2, v[36:37]
	s_wait_alu 0xf1ff
	v_add_co_ci_u32_e64 v47, s0, v48, v27, s0
	v_mov_b32_e32 v43, v28
	v_add_co_u32 v27, s0, v38, v33
	s_wait_alu 0xf1ff
	v_add_co_ci_u32_e64 v28, s0, v48, v34, s0
	s_delay_alu instid0(VALU_DEP_3) | instskip(SKIP_3) | instid1(VALU_DEP_3)
	v_lshlrev_b64_e32 v[29:30], 2, v[42:43]
	v_add_co_u32 v35, s0, v38, v25
	s_wait_alu 0xf1ff
	v_add_co_ci_u32_e64 v36, s0, v48, v26, s0
	v_add_co_u32 v41, s0, v38, v29
	s_wait_alu 0xf1ff
	v_add_co_ci_u32_e64 v42, s0, v48, v30, s0
	s_clause 0xb
	global_load_b32 v26, v[2:3], off
	global_load_b32 v29, v[16:17], off
	;; [unrolled: 1-line block ×12, first 2 shown]
	v_dual_mov_b32 v16, v5 :: v_dual_mov_b32 v17, v4
	s_wait_loadcnt 0xb
	v_lshrrev_b32_e32 v28, 16, v26
	s_wait_loadcnt 0xa
	v_lshrrev_b32_e32 v32, 16, v29
	;; [unrolled: 2-line block ×12, first 2 shown]
.LBB0_13:
	s_or_b32 exec_lo, exec_lo, s1
	v_add_f16_e32 v41, v37, v38
	v_add_f16_e32 v42, v26, v37
	v_sub_f16_e32 v43, v40, v39
	v_add_f16_e32 v44, v40, v39
	v_sub_f16_e32 v37, v37, v38
	v_fmac_f16_e32 v26, -0.5, v41
	v_add_f16_e32 v38, v42, v38
	v_add_f16_e32 v42, v33, v34
	v_add_f16_e32 v40, v28, v40
	v_fmac_f16_e32 v28, -0.5, v44
	v_fmamk_f16 v41, v43, 0x3aee, v26
	v_fmac_f16_e32 v26, 0xbaee, v43
	v_add_f16_e32 v43, v36, v35
	v_add_f16_e32 v44, v29, v33
	v_fmac_f16_e32 v29, -0.5, v42
	v_sub_f16_e32 v42, v36, v35
	v_add_f16_e32 v36, v32, v36
	v_fmac_f16_e32 v32, -0.5, v43
	v_sub_f16_e32 v33, v33, v34
	v_add_f16_e32 v39, v40, v39
	v_fmamk_f16 v40, v37, 0xbaee, v28
	v_fmac_f16_e32 v28, 0x3aee, v37
	v_fmamk_f16 v37, v42, 0x3aee, v29
	v_fmac_f16_e32 v29, 0xbaee, v42
	;; [unrolled: 2-line block ×3, first 2 shown]
	v_add_f16_e32 v35, v36, v35
	v_mul_f16_e32 v33, 0.5, v37
	v_mul_f16_e32 v36, 0xbaee, v37
	v_add_f16_e32 v34, v44, v34
	v_mul_f16_e32 v37, -0.5, v32
	v_mul_f16_e32 v43, -0.5, v29
	v_add_f16_e32 v44, v39, v35
	v_fmac_f16_e32 v36, 0.5, v42
	v_sub_f16_e32 v35, v39, v35
	v_fmac_f16_e32 v37, 0xbaee, v29
	v_fmac_f16_e32 v43, 0x3aee, v32
	v_add_f16_e32 v32, v38, v34
	v_sub_f16_e32 v34, v38, v34
	v_add_f16_e32 v38, v25, v27
	v_add_f16_e32 v46, v28, v37
	v_sub_f16_e32 v28, v28, v37
	v_add_f16_e32 v37, v31, v30
	v_add_f16_e32 v39, v3, v25
	v_fmac_f16_e32 v3, -0.5, v38
	v_sub_f16_e32 v38, v31, v30
	v_add_f16_e32 v31, v2, v31
	v_fmac_f16_e32 v2, -0.5, v37
	v_add_f16_e32 v37, v21, v22
	v_add_f16_e32 v45, v40, v36
	v_sub_f16_e32 v36, v40, v36
	v_add_f16_e32 v39, v39, v27
	v_sub_f16_e32 v25, v25, v27
	v_fmamk_f16 v27, v38, 0x3aee, v3
	v_fmac_f16_e32 v3, 0xbaee, v38
	v_add_f16_e32 v38, v24, v23
	v_add_f16_e32 v40, v19, v21
	v_fmac_f16_e32 v19, -0.5, v37
	v_sub_f16_e32 v37, v24, v23
	v_add_f16_e32 v30, v31, v30
	v_fmamk_f16 v31, v25, 0xbaee, v2
	v_add_f16_e32 v24, v20, v24
	v_fmac_f16_e32 v20, -0.5, v38
	v_sub_f16_e32 v21, v21, v22
	v_fmac_f16_e32 v2, 0x3aee, v25
	v_fmamk_f16 v25, v37, 0x3aee, v19
	v_fmac_f16_e32 v19, 0xbaee, v37
	v_mul_u32_u24_e32 v18, 0x180, v18
	v_fmamk_f16 v37, v21, 0xbaee, v20
	v_fmac_f16_e32 v20, 0x3aee, v21
	v_mul_f16_e32 v21, 0.5, v25
	v_mul_f16_e32 v38, -0.5, v19
	v_fmac_f16_e32 v33, 0x3aee, v42
	v_add_f16_e32 v22, v40, v22
	v_add_f16_e32 v23, v24, v23
	v_mul_f16_e32 v24, 0xbaee, v25
	v_mul_f16_e32 v25, -0.5, v20
	v_fmac_f16_e32 v21, 0x3aee, v37
	v_fmac_f16_e32 v38, 0x3aee, v20
	v_add_f16_e32 v29, v41, v33
	v_add_f16_e32 v42, v26, v43
	;; [unrolled: 1-line block ×3, first 2 shown]
	v_fmac_f16_e32 v25, 0xbaee, v19
	v_add_f16_e32 v19, v27, v21
	v_sub_f16_e32 v39, v39, v22
	v_sub_f16_e32 v21, v27, v21
	v_mul_u32_u24_e32 v27, 6, v6
	v_lshl_add_u32 v22, v18, 1, 0
	v_sub_f16_e32 v33, v41, v33
	v_sub_f16_e32 v26, v26, v43
	v_fmac_f16_e32 v24, 0.5, v37
	v_add_f16_e32 v37, v3, v38
	v_mul_i32_i24_e32 v18, 6, v17
	v_sub_f16_e32 v3, v3, v38
	v_add_f16_e32 v40, v30, v23
	v_sub_f16_e32 v23, v30, v23
	v_lshl_add_u32 v27, v27, 1, v22
	v_pack_b32_f16 v30, v42, v34
	v_pack_b32_f16 v29, v32, v29
	;; [unrolled: 1-line block ×3, first 2 shown]
	v_add_f16_e32 v41, v31, v24
	v_sub_f16_e32 v24, v31, v24
	v_lshl_add_u32 v31, v18, 1, v22
	v_pack_b32_f16 v18, v37, v39
	v_pack_b32_f16 v19, v20, v19
	;; [unrolled: 1-line block ×3, first 2 shown]
	ds_store_2addr_b32 v27, v29, v30 offset1:1
	ds_store_b32 v27, v26 offset:8
	ds_store_2addr_b32 v31, v19, v18 offset1:1
	ds_store_b32 v31, v3 offset:8
	v_mul_lo_u16 v3, v6, 43
	v_add_f16_e32 v43, v2, v25
	v_sub_f16_e32 v2, v2, v25
	v_and_b32_e32 v25, 0xff, v17
	v_and_b32_e32 v30, 0xff, v16
	v_lshrrev_b16 v32, 8, v3
	v_lshl_add_u32 v18, v6, 1, v22
	v_pack_b32_f16 v3, v46, v35
	v_pack_b32_f16 v26, v44, v45
	v_mul_lo_u16 v33, 0xab, v25
	v_mad_i32_i24 v19, v6, -10, v27
	v_pack_b32_f16 v28, v36, v28
	v_mul_lo_u16 v29, v32, 6
	v_mul_lo_u16 v35, 0xab, v30
	global_wb scope:SCOPE_SE
	s_wait_dscnt 0x0
	s_barrier_signal -1
	s_barrier_wait -1
	global_inv scope:SCOPE_SE
	v_mad_i32_i24 v20, v17, -10, v31
	v_lshl_add_u32 v21, v16, 1, v22
	ds_load_u16 v34, v18
	ds_load_u16 v37, v19 offset:192
	ds_load_u16 v38, v19 offset:256
	;; [unrolled: 1-line block ×4, first 2 shown]
	ds_load_u16 v47, v21
	ds_load_u16 v48, v19 offset:576
	ds_load_u16 v49, v19 offset:512
	;; [unrolled: 1-line block ×4, first 2 shown]
	ds_load_u16 v52, v20
	ds_load_u16 v53, v19 offset:704
	global_wb scope:SCOPE_SE
	s_wait_dscnt 0x0
	s_barrier_signal -1
	s_barrier_wait -1
	global_inv scope:SCOPE_SE
	ds_store_2addr_b32 v27, v26, v3 offset1:1
	ds_store_b32 v27, v28 offset:8
	v_pack_b32_f16 v3, v43, v23
	v_lshrrev_b16 v43, 10, v33
	v_sub_nc_u16 v36, v6, v29
	v_pack_b32_f16 v23, v40, v41
	v_lshrrev_b16 v40, 10, v35
	v_pack_b32_f16 v2, v24, v2
	v_mul_lo_u16 v25, v43, 6
	v_mul_lo_u16 v24, v36, 3
	ds_store_2addr_b32 v31, v23, v3 offset1:1
	ds_store_b32 v31, v2 offset:8
	v_mul_lo_u16 v2, v40, 6
	v_sub_nc_u16 v23, v17, v25
	v_and_b32_e32 v3, 0xff, v24
	global_wb scope:SCOPE_SE
	s_wait_dscnt 0x0
	s_barrier_signal -1
	v_sub_nc_u16 v2, v16, v2
	v_and_b32_e32 v41, 0xff, v23
	v_lshlrev_b32_e32 v3, 2, v3
	s_barrier_wait -1
	global_inv scope:SCOPE_SE
	v_and_b32_e32 v44, 0xff, v2
	v_mul_u32_u24_e32 v2, 3, v41
	global_load_b96 v[23:25], v3, s[4:5]
	v_lshrrev_b16 v35, 12, v35
	v_mul_lo_u16 v46, v32, 24
	v_mul_u32_u24_e32 v3, 3, v44
	v_lshlrev_b32_e32 v2, 2, v2
	v_cmp_gt_u32_e64 s0, 24, v6
	v_mul_lo_u16 v55, v35, 24
	v_or_b32_e32 v36, v46, v36
	v_lshlrev_b32_e32 v3, 2, v3
	s_clause 0x1
	global_load_b96 v[26:28], v2, s[4:5]
	global_load_b96 v[29:31], v3, s[4:5]
	v_mov_b32_e32 v3, 0
	v_sub_nc_u16 v46, v16, v55
	ds_load_u16 v55, v19 offset:576
	ds_load_u16 v56, v18
	ds_load_u16 v57, v19 offset:192
	ds_load_u16 v58, v19 offset:256
	;; [unrolled: 1-line block ×5, first 2 shown]
	ds_load_u16 v62, v21
	ds_load_u16 v63, v19 offset:512
	ds_load_u16 v64, v19 offset:320
	ds_load_u16 v65, v20
	ds_load_u16 v66, v19 offset:704
	v_subrev_nc_u32_e32 v2, 24, v6
	v_lshrrev_b16 v54, 12, v33
	v_and_b32_e32 v43, 0xffff, v43
	v_and_b32_e32 v40, 0xffff, v40
	;; [unrolled: 1-line block ×3, first 2 shown]
	s_wait_alu 0xf1ff
	v_cndmask_b32_e64 v45, v2, v6, s0
	v_and_b32_e32 v46, 0xff, v46
	v_mul_u32_u24_e32 v43, 24, v43
	v_mul_u32_u24_e32 v40, 24, v40
	v_lshl_add_u32 v36, v36, 1, v22
	v_mul_i32_i24_e32 v2, 3, v45
	global_wb scope:SCOPE_SE
	s_wait_loadcnt_dscnt 0x0
	v_or_b32_e32 v41, v43, v41
	v_or_b32_e32 v40, v40, v44
	v_mul_u32_u24_e32 v44, 3, v46
	v_lshlrev_b64_e32 v[32:33], 2, v[2:3]
	v_mul_lo_u16 v2, v54, 24
	v_lshl_add_u32 v41, v41, 1, v22
	v_lshl_add_u32 v40, v40, 1, v22
	s_barrier_signal -1
	s_barrier_wait -1
	v_sub_nc_u16 v2, v17, v2
	v_add_co_u32 v32, s0, s4, v32
	s_wait_alu 0xf1ff
	v_add_co_ci_u32_e64 v33, s0, s5, v33, s0
	s_delay_alu instid0(VALU_DEP_3) | instskip(SKIP_3) | instid1(VALU_DEP_1)
	v_and_b32_e32 v2, 0xff, v2
	global_inv scope:SCOPE_SE
	v_cmp_lt_u32_e64 s0, 23, v6
	v_mul_u32_u24_e32 v43, 3, v2
	v_lshlrev_b32_e32 v43, 2, v43
	v_lshrrev_b32_e32 v67, 16, v23
	v_lshrrev_b32_e32 v68, 16, v24
	v_lshrrev_b32_e32 v69, 16, v25
	s_delay_alu instid0(VALU_DEP_3) | instskip(SKIP_1) | instid1(VALU_DEP_4)
	v_mul_f16_e32 v70, v57, v67
	v_mul_f16_e32 v67, v37, v67
	;; [unrolled: 1-line block ×6, first 2 shown]
	v_lshrrev_b32_e32 v73, 16, v26
	v_lshrrev_b32_e32 v74, 16, v27
	;; [unrolled: 1-line block ×6, first 2 shown]
	v_fma_f16 v37, v37, v23, -v70
	v_fmac_f16_e32 v67, v57, v23
	v_fma_f16 v23, v50, v24, -v71
	v_fmac_f16_e32 v68, v59, v24
	;; [unrolled: 2-line block ×3, first 2 shown]
	v_mul_f16_e32 v25, v58, v73
	v_mul_f16_e32 v48, v38, v73
	;; [unrolled: 1-line block ×12, first 2 shown]
	v_fma_f16 v25, v38, v26, -v25
	v_fmac_f16_e32 v48, v58, v26
	v_fma_f16 v26, v39, v27, -v50
	v_fmac_f16_e32 v55, v60, v27
	;; [unrolled: 2-line block ×5, first 2 shown]
	v_fma_f16 v30, v53, v31, -v74
	v_sub_f16_e32 v23, v34, v23
	v_sub_f16_e32 v38, v56, v68
	v_sub_f16_e32 v24, v37, v24
	v_sub_f16_e32 v39, v67, v69
	v_fmac_f16_e32 v75, v66, v31
	v_sub_f16_e32 v26, v52, v26
	v_sub_f16_e32 v49, v65, v55
	;; [unrolled: 1-line block ×6, first 2 shown]
	v_fma_f16 v31, v34, 2.0, -v23
	v_fma_f16 v34, v56, 2.0, -v38
	v_fma_f16 v37, v37, 2.0, -v24
	v_fma_f16 v42, v67, 2.0, -v39
	v_sub_f16_e32 v51, v62, v73
	v_sub_f16_e32 v53, v71, v75
	v_fma_f16 v52, v52, 2.0, -v26
	v_fma_f16 v55, v65, 2.0, -v49
	;; [unrolled: 1-line block ×6, first 2 shown]
	v_sub_f16_e32 v37, v31, v37
	v_sub_f16_e32 v42, v34, v42
	v_fma_f16 v56, v62, 2.0, -v51
	v_fma_f16 v57, v71, 2.0, -v53
	v_sub_f16_e32 v39, v23, v39
	v_add_f16_e32 v24, v38, v24
	v_sub_f16_e32 v53, v29, v53
	v_sub_f16_e32 v25, v52, v25
	;; [unrolled: 1-line block ×5, first 2 shown]
	v_add_f16_e32 v27, v49, v27
	v_add_f16_e32 v30, v51, v30
	v_fma_f16 v31, v31, 2.0, -v37
	v_fma_f16 v34, v34, 2.0, -v42
	v_sub_f16_e32 v57, v56, v57
	v_fma_f16 v23, v23, 2.0, -v39
	v_fma_f16 v38, v38, 2.0, -v24
	;; [unrolled: 1-line block ×10, first 2 shown]
	ds_store_b16 v36, v31
	ds_store_b16 v36, v23 offset:12
	ds_store_b16 v36, v37 offset:24
	ds_store_b16 v36, v39 offset:36
	ds_store_b16 v41, v52
	ds_store_b16 v41, v26 offset:12
	ds_store_b16 v41, v25 offset:24
	ds_store_b16 v41, v50 offset:36
	;; [unrolled: 4-line block ×3, first 2 shown]
	global_wb scope:SCOPE_SE
	s_wait_dscnt 0x0
	s_barrier_signal -1
	s_barrier_wait -1
	global_inv scope:SCOPE_SE
	ds_load_u16 v37, v18
	ds_load_u16 v39, v19 offset:192
	ds_load_u16 v47, v19 offset:256
	;; [unrolled: 1-line block ×4, first 2 shown]
	ds_load_u16 v53, v21
	ds_load_u16 v58, v19 offset:576
	ds_load_u16 v59, v19 offset:512
	;; [unrolled: 1-line block ×4, first 2 shown]
	ds_load_u16 v62, v20
	ds_load_u16 v63, v19 offset:704
	global_wb scope:SCOPE_SE
	s_wait_dscnt 0x0
	s_barrier_signal -1
	s_barrier_wait -1
	global_inv scope:SCOPE_SE
	ds_store_b16 v36, v34
	ds_store_b16 v36, v38 offset:12
	ds_store_b16 v36, v42 offset:24
	ds_store_b16 v36, v24 offset:36
	ds_store_b16 v41, v55
	ds_store_b16 v41, v49 offset:12
	ds_store_b16 v41, v48 offset:24
	ds_store_b16 v41, v27 offset:36
	;; [unrolled: 4-line block ×3, first 2 shown]
	global_wb scope:SCOPE_SE
	s_wait_dscnt 0x0
	s_barrier_signal -1
	s_barrier_wait -1
	global_inv scope:SCOPE_SE
	global_load_b96 v[23:25], v[32:33], off offset:72
	v_lshlrev_b32_e32 v29, 2, v44
	s_clause 0x1
	global_load_b96 v[26:28], v43, s[4:5] offset:72
	global_load_b96 v[29:31], v29, s[4:5] offset:72
	v_and_b32_e32 v32, 0xffff, v54
	v_and_b32_e32 v33, 0xffff, v35
	s_wait_alu 0xf1ff
	v_cndmask_b32_e64 v34, 0, 0x60, s0
	s_delay_alu instid0(VALU_DEP_3) | instskip(NEXT) | instid1(VALU_DEP_3)
	v_mul_u32_u24_e32 v32, 0x60, v32
	v_mul_u32_u24_e32 v33, 0x60, v33
	s_delay_alu instid0(VALU_DEP_3) | instskip(NEXT) | instid1(VALU_DEP_3)
	v_or_b32_e32 v34, v34, v45
	v_or_b32_e32 v2, v32, v2
	s_delay_alu instid0(VALU_DEP_3) | instskip(NEXT) | instid1(VALU_DEP_3)
	v_or_b32_e32 v32, v33, v46
	v_lshl_add_u32 v34, v34, 1, v22
	s_delay_alu instid0(VALU_DEP_3) | instskip(NEXT) | instid1(VALU_DEP_3)
	v_lshl_add_u32 v2, v2, 1, v22
	v_lshl_add_u32 v35, v32, 1, v22
	ds_load_u16 v22, v18
	ds_load_u16 v32, v19 offset:192
	ds_load_u16 v33, v19 offset:256
	;; [unrolled: 1-line block ×5, first 2 shown]
	ds_load_u16 v41, v21
	ds_load_u16 v42, v19 offset:576
	ds_load_u16 v43, v19 offset:512
	;; [unrolled: 1-line block ×3, first 2 shown]
	ds_load_u16 v45, v20
	ds_load_u16 v46, v19 offset:704
	global_wb scope:SCOPE_SE
	s_wait_loadcnt_dscnt 0x0
	s_barrier_signal -1
	s_barrier_wait -1
	global_inv scope:SCOPE_SE
	v_lshrrev_b32_e32 v48, 16, v23
	v_lshrrev_b32_e32 v49, 16, v24
	;; [unrolled: 1-line block ×9, first 2 shown]
	v_mul_f16_e32 v66, v32, v48
	v_mul_f16_e32 v48, v39, v48
	;; [unrolled: 1-line block ×17, first 2 shown]
	v_fma_f16 v39, v39, v23, -v66
	v_fmac_f16_e32 v48, v32, v23
	v_fma_f16 v23, v60, v24, -v67
	v_fmac_f16_e32 v49, v36, v24
	v_fma_f16 v24, v58, v25, -v68
	v_mul_f16_e32 v65, v63, v65
	v_fmac_f16_e32 v51, v42, v25
	v_fma_f16 v25, v47, v26, -v69
	v_fmac_f16_e32 v54, v33, v26
	v_fma_f16 v26, v50, v27, -v70
	;; [unrolled: 2-line block ×6, first 2 shown]
	v_sub_f16_e32 v23, v37, v23
	v_sub_f16_e32 v24, v39, v24
	v_fmac_f16_e32 v65, v46, v31
	v_sub_f16_e32 v31, v22, v49
	v_sub_f16_e32 v32, v48, v51
	;; [unrolled: 1-line block ×8, first 2 shown]
	v_fma_f16 v37, v37, 2.0, -v23
	v_fma_f16 v39, v39, 2.0, -v24
	v_sub_f16_e32 v36, v54, v56
	v_sub_f16_e32 v40, v57, v65
	v_fma_f16 v22, v22, 2.0, -v31
	v_fma_f16 v42, v48, 2.0, -v32
	v_add_f16_e32 v43, v31, v24
	v_fma_f16 v24, v62, 2.0, -v26
	v_fma_f16 v25, v25, 2.0, -v27
	v_add_f16_e32 v46, v33, v27
	;; [unrolled: 3-line block ×3, first 2 shown]
	v_sub_f16_e32 v30, v37, v39
	v_sub_f16_e32 v32, v23, v32
	v_fma_f16 v44, v45, 2.0, -v33
	v_fma_f16 v45, v54, 2.0, -v36
	v_sub_f16_e32 v36, v26, v36
	v_fma_f16 v47, v57, 2.0, -v40
	v_sub_f16_e32 v40, v29, v40
	v_sub_f16_e32 v39, v22, v42
	;; [unrolled: 1-line block ×4, first 2 shown]
	v_fma_f16 v42, v31, 2.0, -v43
	v_fma_f16 v31, v37, 2.0, -v30
	;; [unrolled: 1-line block ×9, first 2 shown]
	ds_store_b16 v34, v31
	ds_store_b16 v34, v23 offset:48
	ds_store_b16 v34, v30 offset:96
	ds_store_b16 v34, v32 offset:144
	ds_store_b16 v2, v22
	ds_store_b16 v2, v26 offset:48
	ds_store_b16 v2, v25 offset:96
	ds_store_b16 v2, v36 offset:144
	;; [unrolled: 4-line block ×3, first 2 shown]
	global_wb scope:SCOPE_SE
	s_wait_dscnt 0x0
	s_barrier_signal -1
	s_barrier_wait -1
	global_inv scope:SCOPE_SE
	ds_load_u16 v27, v18
	ds_load_u16 v31, v19 offset:192
	ds_load_u16 v24, v19 offset:256
	;; [unrolled: 1-line block ×4, first 2 shown]
	ds_load_u16 v23, v21
	ds_load_u16 v32, v19 offset:576
	ds_load_u16 v30, v19 offset:512
	ds_load_u16 v33, v19 offset:384
	ds_load_u16 v28, v19 offset:320
	ds_load_u16 v22, v20
	ds_load_u16 v29, v19 offset:704
	v_fma_f16 v41, v41, 2.0, -v38
	v_sub_f16_e32 v45, v44, v45
	v_fma_f16 v38, v38, 2.0, -v48
	global_wb scope:SCOPE_SE
	s_wait_dscnt 0x0
	s_barrier_signal -1
	v_sub_f16_e32 v47, v41, v47
	v_fma_f16 v44, v44, 2.0, -v45
	s_barrier_wait -1
	global_inv scope:SCOPE_SE
	v_fma_f16 v41, v41, 2.0, -v47
	ds_store_b16 v34, v37
	ds_store_b16 v34, v42 offset:48
	ds_store_b16 v34, v39 offset:96
	ds_store_b16 v34, v43 offset:144
	ds_store_b16 v2, v44
	ds_store_b16 v2, v49 offset:48
	ds_store_b16 v2, v45 offset:96
	ds_store_b16 v2, v46 offset:144
	;; [unrolled: 4-line block ×3, first 2 shown]
	global_wb scope:SCOPE_SE
	s_wait_dscnt 0x0
	s_barrier_signal -1
	s_barrier_wait -1
	global_inv scope:SCOPE_SE
	s_and_saveexec_b32 s0, vcc_lo
	s_cbranch_execz .LBB0_15
; %bb.14:
	v_mul_i32_i24_e32 v2, 3, v16
	v_mul_u32_u24_e32 v34, 3, v6
	v_mad_co_u64_u32 v[53:54], null, s8, v7, 0
	v_mad_co_u64_u32 v[49:50], null, s8, v5, 0
	s_delay_alu instid0(VALU_DEP_4) | instskip(SKIP_4) | instid1(VALU_DEP_4)
	v_lshlrev_b64_e32 v[37:38], 2, v[2:3]
	v_mul_i32_i24_e32 v2, 3, v17
	v_lshlrev_b32_e32 v16, 2, v34
	v_mad_co_u64_u32 v[51:52], null, s8, v10, 0
	v_mad_co_u64_u32 v[43:44], null, s8, v8, 0
	v_lshlrev_b64_e32 v[2:3], 2, v[2:3]
	v_add_co_u32 v37, vcc_lo, s4, v37
	global_load_b96 v[34:36], v16, s[4:5] offset:360
	s_wait_alu 0xfffd
	v_add_co_ci_u32_e32 v38, vcc_lo, s5, v38, vcc_lo
	v_add_co_u32 v2, vcc_lo, s4, v2
	s_wait_alu 0xfffd
	v_add_co_ci_u32_e32 v3, vcc_lo, s5, v3, vcc_lo
	global_load_b96 v[37:39], v[37:38], off offset:360
	v_add_co_u32 v75, vcc_lo, s10, v0
	global_load_b96 v[40:42], v[2:3], off offset:360
	v_mad_co_u64_u32 v[2:3], null, s8, v6, 0
	s_wait_alu 0xfffd
	v_add_co_ci_u32_e32 v76, vcc_lo, s11, v1, vcc_lo
	v_mad_co_u64_u32 v[0:1], null, s8, v14, 0
	ds_load_u16 v63, v21
	ds_load_u16 v64, v20
	ds_load_u16 v65, v19 offset:704
	ds_load_u16 v66, v19 offset:640
	;; [unrolled: 1-line block ×9, first 2 shown]
	ds_load_u16 v74, v18
	v_mad_co_u64_u32 v[16:17], null, s8, v12, 0
	v_mad_co_u64_u32 v[18:19], null, s8, v15, 0
	;; [unrolled: 1-line block ×11, first 2 shown]
	v_mov_b32_e32 v3, v54
	v_mad_co_u64_u32 v[61:62], null, s9, v8, v[44:45]
	v_mad_co_u64_u32 v[12:13], null, s9, v13, v[46:47]
	;; [unrolled: 1-line block ×3, first 2 shown]
	v_mov_b32_e32 v1, v56
	v_mad_co_u64_u32 v[5:6], null, s9, v10, v[52:53]
	v_mov_b32_e32 v44, v61
	v_mad_co_u64_u32 v[14:15], null, s9, v15, v[19:20]
	v_mad_co_u64_u32 v[6:7], null, s9, v7, v[3:4]
	;; [unrolled: 1-line block ×3, first 2 shown]
	v_dual_mov_b32 v3, v57 :: v_dual_mov_b32 v46, v12
	v_dual_mov_b32 v1, v58 :: v_dual_mov_b32 v48, v8
	;; [unrolled: 1-line block ×5, first 2 shown]
	v_lshlrev_b64_e32 v[12:13], 2, v[45:46]
	v_lshlrev_b64_e32 v[14:15], 2, v[47:48]
	v_mov_b32_e32 v56, v9
	v_lshlrev_b64_e32 v[4:5], 2, v[16:17]
	v_lshlrev_b64_e32 v[6:7], 2, v[18:19]
	;; [unrolled: 1-line block ×10, first 2 shown]
	s_delay_alu instid0(VALU_DEP_4)
	v_add_co_u32 v2, vcc_lo, v75, v2
	s_wait_alu 0xfffd
	v_add_co_ci_u32_e32 v3, vcc_lo, v76, v3, vcc_lo
	v_add_co_u32 v0, vcc_lo, v75, v0
	s_wait_alu 0xfffd
	v_add_co_ci_u32_e32 v1, vcc_lo, v76, v1, vcc_lo
	;; [unrolled: 3-line block ×12, first 2 shown]
	s_wait_loadcnt 0x2
	v_lshrrev_b32_e32 v45, 16, v34
	v_lshrrev_b32_e32 v46, 16, v35
	;; [unrolled: 1-line block ×3, first 2 shown]
	s_delay_alu instid0(VALU_DEP_3) | instskip(SKIP_1) | instid1(VALU_DEP_3)
	v_mul_f16_e32 v49, v31, v45
	s_wait_dscnt 0x4
	v_mul_f16_e32 v48, v70, v46
	s_delay_alu instid0(VALU_DEP_3)
	v_mul_f16_e32 v50, v32, v47
	v_mul_f16_e32 v46, v33, v46
	s_wait_dscnt 0x1
	v_mul_f16_e32 v45, v73, v45
	v_mul_f16_e32 v47, v67, v47
	s_wait_loadcnt 0x1
	v_lshrrev_b32_e32 v51, 16, v37
	v_lshrrev_b32_e32 v52, 16, v38
	;; [unrolled: 1-line block ×3, first 2 shown]
	v_fma_f16 v33, v33, v35, -v48
	v_fmac_f16_e32 v49, v73, v34
	v_fmac_f16_e32 v50, v67, v36
	;; [unrolled: 1-line block ×3, first 2 shown]
	v_fma_f16 v31, v31, v34, -v45
	v_fma_f16 v32, v32, v36, -v47
	v_mul_f16_e32 v34, v68, v52
	v_mul_f16_e32 v35, v28, v51
	;; [unrolled: 1-line block ×6, first 2 shown]
	s_wait_loadcnt 0x0
	v_lshrrev_b32_e32 v51, 16, v40
	v_lshrrev_b32_e32 v52, 16, v41
	v_lshrrev_b32_e32 v53, 16, v42
	v_sub_f16_e32 v33, v27, v33
	v_sub_f16_e32 v50, v49, v50
	s_wait_dscnt 0x0
	v_sub_f16_e32 v46, v74, v46
	v_sub_f16_e32 v32, v31, v32
	v_fma_f16 v30, v30, v38, -v34
	v_fmac_f16_e32 v35, v71, v37
	v_fmac_f16_e32 v36, v65, v39
	;; [unrolled: 1-line block ×3, first 2 shown]
	v_fma_f16 v28, v28, v37, -v47
	v_fma_f16 v29, v29, v39, -v48
	v_mul_f16_e32 v34, v69, v52
	v_mul_f16_e32 v37, v24, v51
	;; [unrolled: 1-line block ×6, first 2 shown]
	v_add_f16_e32 v52, v46, v32
	v_fma_f16 v27, v27, 2.0, -v33
	v_fma_f16 v31, v31, 2.0, -v32
	;; [unrolled: 1-line block ×4, first 2 shown]
	v_sub_f16_e32 v30, v23, v30
	v_sub_f16_e32 v36, v35, v36
	v_fma_f16 v26, v26, v41, -v34
	v_fmac_f16_e32 v37, v72, v40
	v_fmac_f16_e32 v38, v66, v42
	;; [unrolled: 1-line block ×3, first 2 shown]
	v_fma_f16 v24, v24, v40, -v47
	v_fma_f16 v25, v25, v42, -v48
	v_sub_f16_e32 v31, v27, v31
	v_sub_f16_e32 v40, v32, v49
	;; [unrolled: 1-line block ×3, first 2 shown]
	v_fma_f16 v35, v35, 2.0, -v36
	v_sub_f16_e32 v26, v22, v26
	v_sub_f16_e32 v36, v37, v38
	;; [unrolled: 1-line block ×6, first 2 shown]
	v_fma_f16 v27, v27, 2.0, -v31
	v_fma_f16 v32, v32, 2.0, -v40
	v_pack_b32_f16 v31, v31, v40
	v_sub_f16_e32 v39, v26, v36
	v_add_f16_e32 v40, v38, v25
	v_fma_f16 v22, v22, 2.0, -v26
	v_fma_f16 v24, v24, 2.0, -v25
	;; [unrolled: 1-line block ×4, first 2 shown]
	v_sub_f16_e32 v51, v33, v50
	v_fma_f16 v34, v46, 2.0, -v52
	v_add_f16_e32 v46, v45, v29
	v_fma_f16 v23, v23, 2.0, -v30
	v_fma_f16 v28, v28, 2.0, -v29
	v_fma_f16 v29, v63, 2.0, -v45
	v_pack_b32_f16 v27, v27, v32
	v_sub_f16_e32 v24, v22, v24
	v_sub_f16_e32 v32, v25, v36
	v_fma_f16 v33, v33, 2.0, -v51
	v_sub_f16_e32 v28, v23, v28
	v_sub_f16_e32 v35, v29, v35
	v_fma_f16 v22, v22, 2.0, -v24
	v_fma_f16 v25, v25, 2.0, -v32
	v_pack_b32_f16 v33, v33, v34
	v_fma_f16 v26, v26, 2.0, -v39
	v_fma_f16 v36, v38, 2.0, -v40
	;; [unrolled: 1-line block ×4, first 2 shown]
	v_pack_b32_f16 v41, v51, v52
	v_fma_f16 v30, v30, 2.0, -v42
	v_fma_f16 v34, v45, 2.0, -v46
	s_clause 0x2
	global_store_b32 v[2:3], v27, off
	global_store_b32 v[0:1], v33, off
	;; [unrolled: 1-line block ×3, first 2 shown]
	v_pack_b32_f16 v0, v22, v25
	v_pack_b32_f16 v1, v26, v36
	;; [unrolled: 1-line block ×8, first 2 shown]
	s_clause 0x8
	global_store_b32 v[6:7], v41, off
	global_store_b32 v[8:9], v0, off
	;; [unrolled: 1-line block ×9, first 2 shown]
.LBB0_15:
	s_nop 0
	s_sendmsg sendmsg(MSG_DEALLOC_VGPRS)
	s_endpgm
	.section	.rodata,"a",@progbits
	.p2align	6, 0x0
	.amdhsa_kernel fft_rtc_fwd_len384_factors_6_4_4_4_wgs_128_tpt_32_halfLds_half_ip_CI_sbrr_dirReg
		.amdhsa_group_segment_fixed_size 0
		.amdhsa_private_segment_fixed_size 0
		.amdhsa_kernarg_size 88
		.amdhsa_user_sgpr_count 2
		.amdhsa_user_sgpr_dispatch_ptr 0
		.amdhsa_user_sgpr_queue_ptr 0
		.amdhsa_user_sgpr_kernarg_segment_ptr 1
		.amdhsa_user_sgpr_dispatch_id 0
		.amdhsa_user_sgpr_private_segment_size 0
		.amdhsa_wavefront_size32 1
		.amdhsa_uses_dynamic_stack 0
		.amdhsa_enable_private_segment 0
		.amdhsa_system_sgpr_workgroup_id_x 1
		.amdhsa_system_sgpr_workgroup_id_y 0
		.amdhsa_system_sgpr_workgroup_id_z 0
		.amdhsa_system_sgpr_workgroup_info 0
		.amdhsa_system_vgpr_workitem_id 0
		.amdhsa_next_free_vgpr 79
		.amdhsa_next_free_sgpr 35
		.amdhsa_reserve_vcc 1
		.amdhsa_float_round_mode_32 0
		.amdhsa_float_round_mode_16_64 0
		.amdhsa_float_denorm_mode_32 3
		.amdhsa_float_denorm_mode_16_64 3
		.amdhsa_fp16_overflow 0
		.amdhsa_workgroup_processor_mode 1
		.amdhsa_memory_ordered 1
		.amdhsa_forward_progress 0
		.amdhsa_round_robin_scheduling 0
		.amdhsa_exception_fp_ieee_invalid_op 0
		.amdhsa_exception_fp_denorm_src 0
		.amdhsa_exception_fp_ieee_div_zero 0
		.amdhsa_exception_fp_ieee_overflow 0
		.amdhsa_exception_fp_ieee_underflow 0
		.amdhsa_exception_fp_ieee_inexact 0
		.amdhsa_exception_int_div_zero 0
	.end_amdhsa_kernel
	.text
.Lfunc_end0:
	.size	fft_rtc_fwd_len384_factors_6_4_4_4_wgs_128_tpt_32_halfLds_half_ip_CI_sbrr_dirReg, .Lfunc_end0-fft_rtc_fwd_len384_factors_6_4_4_4_wgs_128_tpt_32_halfLds_half_ip_CI_sbrr_dirReg
                                        ; -- End function
	.section	.AMDGPU.csdata,"",@progbits
; Kernel info:
; codeLenInByte = 7324
; NumSgprs: 37
; NumVgprs: 79
; ScratchSize: 0
; MemoryBound: 0
; FloatMode: 240
; IeeeMode: 1
; LDSByteSize: 0 bytes/workgroup (compile time only)
; SGPRBlocks: 4
; VGPRBlocks: 9
; NumSGPRsForWavesPerEU: 37
; NumVGPRsForWavesPerEU: 79
; Occupancy: 16
; WaveLimiterHint : 1
; COMPUTE_PGM_RSRC2:SCRATCH_EN: 0
; COMPUTE_PGM_RSRC2:USER_SGPR: 2
; COMPUTE_PGM_RSRC2:TRAP_HANDLER: 0
; COMPUTE_PGM_RSRC2:TGID_X_EN: 1
; COMPUTE_PGM_RSRC2:TGID_Y_EN: 0
; COMPUTE_PGM_RSRC2:TGID_Z_EN: 0
; COMPUTE_PGM_RSRC2:TIDIG_COMP_CNT: 0
	.text
	.p2alignl 7, 3214868480
	.fill 96, 4, 3214868480
	.type	__hip_cuid_6cd1a00a26374ac,@object ; @__hip_cuid_6cd1a00a26374ac
	.section	.bss,"aw",@nobits
	.globl	__hip_cuid_6cd1a00a26374ac
__hip_cuid_6cd1a00a26374ac:
	.byte	0                               ; 0x0
	.size	__hip_cuid_6cd1a00a26374ac, 1

	.ident	"AMD clang version 19.0.0git (https://github.com/RadeonOpenCompute/llvm-project roc-6.4.0 25133 c7fe45cf4b819c5991fe208aaa96edf142730f1d)"
	.section	".note.GNU-stack","",@progbits
	.addrsig
	.addrsig_sym __hip_cuid_6cd1a00a26374ac
	.amdgpu_metadata
---
amdhsa.kernels:
  - .args:
      - .actual_access:  read_only
        .address_space:  global
        .offset:         0
        .size:           8
        .value_kind:     global_buffer
      - .offset:         8
        .size:           8
        .value_kind:     by_value
      - .actual_access:  read_only
        .address_space:  global
        .offset:         16
        .size:           8
        .value_kind:     global_buffer
      - .actual_access:  read_only
        .address_space:  global
        .offset:         24
        .size:           8
        .value_kind:     global_buffer
      - .offset:         32
        .size:           8
        .value_kind:     by_value
      - .actual_access:  read_only
        .address_space:  global
        .offset:         40
        .size:           8
        .value_kind:     global_buffer
      - .actual_access:  read_only
        .address_space:  global
        .offset:         48
        .size:           8
        .value_kind:     global_buffer
      - .offset:         56
        .size:           4
        .value_kind:     by_value
      - .actual_access:  read_only
        .address_space:  global
        .offset:         64
        .size:           8
        .value_kind:     global_buffer
      - .actual_access:  read_only
        .address_space:  global
        .offset:         72
        .size:           8
        .value_kind:     global_buffer
      - .address_space:  global
        .offset:         80
        .size:           8
        .value_kind:     global_buffer
    .group_segment_fixed_size: 0
    .kernarg_segment_align: 8
    .kernarg_segment_size: 88
    .language:       OpenCL C
    .language_version:
      - 2
      - 0
    .max_flat_workgroup_size: 128
    .name:           fft_rtc_fwd_len384_factors_6_4_4_4_wgs_128_tpt_32_halfLds_half_ip_CI_sbrr_dirReg
    .private_segment_fixed_size: 0
    .sgpr_count:     37
    .sgpr_spill_count: 0
    .symbol:         fft_rtc_fwd_len384_factors_6_4_4_4_wgs_128_tpt_32_halfLds_half_ip_CI_sbrr_dirReg.kd
    .uniform_work_group_size: 1
    .uses_dynamic_stack: false
    .vgpr_count:     79
    .vgpr_spill_count: 0
    .wavefront_size: 32
    .workgroup_processor_mode: 1
amdhsa.target:   amdgcn-amd-amdhsa--gfx1201
amdhsa.version:
  - 1
  - 2
...

	.end_amdgpu_metadata
